;; amdgpu-corpus repo=ROCm/rocFFT kind=compiled arch=gfx906 opt=O3
	.text
	.amdgcn_target "amdgcn-amd-amdhsa--gfx906"
	.amdhsa_code_object_version 6
	.protected	fft_rtc_fwd_len680_factors_17_4_10_wgs_204_tpt_68_halfLds_half_op_CI_CI_unitstride_sbrr_dirReg ; -- Begin function fft_rtc_fwd_len680_factors_17_4_10_wgs_204_tpt_68_halfLds_half_op_CI_CI_unitstride_sbrr_dirReg
	.globl	fft_rtc_fwd_len680_factors_17_4_10_wgs_204_tpt_68_halfLds_half_op_CI_CI_unitstride_sbrr_dirReg
	.p2align	8
	.type	fft_rtc_fwd_len680_factors_17_4_10_wgs_204_tpt_68_halfLds_half_op_CI_CI_unitstride_sbrr_dirReg,@function
fft_rtc_fwd_len680_factors_17_4_10_wgs_204_tpt_68_halfLds_half_op_CI_CI_unitstride_sbrr_dirReg: ; @fft_rtc_fwd_len680_factors_17_4_10_wgs_204_tpt_68_halfLds_half_op_CI_CI_unitstride_sbrr_dirReg
; %bb.0:
	s_load_dwordx4 s[8:11], s[4:5], 0x58
	s_load_dwordx4 s[12:15], s[4:5], 0x0
	;; [unrolled: 1-line block ×3, first 2 shown]
	v_mul_u32_u24_e32 v1, 0x3c4, v0
	v_lshrrev_b32_e32 v1, 16, v1
	v_mad_u64_u32 v[1:2], s[0:1], s6, 3, v[1:2]
	v_mov_b32_e32 v5, 0
	v_mov_b32_e32 v3, 0
	;; [unrolled: 1-line block ×3, first 2 shown]
	s_waitcnt lgkmcnt(0)
	v_cmp_lt_u64_e64 s[0:1], s[14:15], 2
	v_mov_b32_e32 v4, 0
	v_mov_b32_e32 v12, v4
	;; [unrolled: 1-line block ×3, first 2 shown]
	s_and_b64 vcc, exec, s[0:1]
	v_mov_b32_e32 v11, v3
	v_mov_b32_e32 v13, v1
	s_cbranch_vccnz .LBB0_8
; %bb.1:
	s_load_dwordx2 s[0:1], s[4:5], 0x10
	s_add_u32 s2, s18, 8
	s_addc_u32 s3, s19, 0
	s_add_u32 s6, s16, 8
	v_mov_b32_e32 v3, 0
	s_addc_u32 s7, s17, 0
	v_mov_b32_e32 v4, 0
	s_waitcnt lgkmcnt(0)
	s_add_u32 s20, s0, 8
	v_mov_b32_e32 v12, v4
	v_mov_b32_e32 v8, v2
	s_addc_u32 s21, s1, 0
	s_mov_b64 s[22:23], 1
	v_mov_b32_e32 v11, v3
	v_mov_b32_e32 v7, v1
.LBB0_2:                                ; =>This Inner Loop Header: Depth=1
	s_load_dwordx2 s[24:25], s[20:21], 0x0
                                        ; implicit-def: $vgpr13_vgpr14
	s_waitcnt lgkmcnt(0)
	v_or_b32_e32 v6, s25, v8
	v_cmp_ne_u64_e32 vcc, 0, v[5:6]
	s_and_saveexec_b64 s[0:1], vcc
	s_xor_b64 s[26:27], exec, s[0:1]
	s_cbranch_execz .LBB0_4
; %bb.3:                                ;   in Loop: Header=BB0_2 Depth=1
	v_cvt_f32_u32_e32 v2, s24
	v_cvt_f32_u32_e32 v6, s25
	s_sub_u32 s0, 0, s24
	s_subb_u32 s1, 0, s25
	v_mac_f32_e32 v2, 0x4f800000, v6
	v_rcp_f32_e32 v2, v2
	v_mul_f32_e32 v2, 0x5f7ffffc, v2
	v_mul_f32_e32 v6, 0x2f800000, v2
	v_trunc_f32_e32 v6, v6
	v_mac_f32_e32 v2, 0xcf800000, v6
	v_cvt_u32_f32_e32 v6, v6
	v_cvt_u32_f32_e32 v2, v2
	v_mul_lo_u32 v9, s0, v6
	v_mul_hi_u32 v10, s0, v2
	v_mul_lo_u32 v14, s1, v2
	v_mul_lo_u32 v13, s0, v2
	v_add_u32_e32 v9, v10, v9
	v_add_u32_e32 v9, v9, v14
	v_mul_hi_u32 v10, v2, v13
	v_mul_lo_u32 v14, v2, v9
	v_mul_hi_u32 v16, v2, v9
	v_mul_hi_u32 v15, v6, v13
	v_mul_lo_u32 v13, v6, v13
	v_mul_hi_u32 v17, v6, v9
	v_add_co_u32_e32 v10, vcc, v10, v14
	v_addc_co_u32_e32 v14, vcc, 0, v16, vcc
	v_mul_lo_u32 v9, v6, v9
	v_add_co_u32_e32 v10, vcc, v10, v13
	v_addc_co_u32_e32 v10, vcc, v14, v15, vcc
	v_addc_co_u32_e32 v13, vcc, 0, v17, vcc
	v_add_co_u32_e32 v9, vcc, v10, v9
	v_addc_co_u32_e32 v10, vcc, 0, v13, vcc
	v_add_co_u32_e32 v2, vcc, v2, v9
	v_addc_co_u32_e32 v6, vcc, v6, v10, vcc
	v_mul_lo_u32 v9, s0, v6
	v_mul_hi_u32 v10, s0, v2
	v_mul_lo_u32 v13, s1, v2
	v_mul_lo_u32 v14, s0, v2
	v_add_u32_e32 v9, v10, v9
	v_add_u32_e32 v9, v9, v13
	v_mul_lo_u32 v15, v2, v9
	v_mul_hi_u32 v16, v2, v14
	v_mul_hi_u32 v17, v2, v9
	;; [unrolled: 1-line block ×3, first 2 shown]
	v_mul_lo_u32 v14, v6, v14
	v_mul_hi_u32 v10, v6, v9
	v_add_co_u32_e32 v15, vcc, v16, v15
	v_addc_co_u32_e32 v16, vcc, 0, v17, vcc
	v_mul_lo_u32 v9, v6, v9
	v_add_co_u32_e32 v14, vcc, v15, v14
	v_addc_co_u32_e32 v13, vcc, v16, v13, vcc
	v_addc_co_u32_e32 v10, vcc, 0, v10, vcc
	v_add_co_u32_e32 v9, vcc, v13, v9
	v_addc_co_u32_e32 v10, vcc, 0, v10, vcc
	v_add_co_u32_e32 v2, vcc, v2, v9
	v_addc_co_u32_e32 v6, vcc, v6, v10, vcc
	v_mad_u64_u32 v[9:10], s[0:1], v7, v6, 0
	v_mul_hi_u32 v13, v7, v2
	v_add_co_u32_e32 v15, vcc, v13, v9
	v_addc_co_u32_e32 v16, vcc, 0, v10, vcc
	v_mad_u64_u32 v[9:10], s[0:1], v8, v2, 0
	v_mad_u64_u32 v[13:14], s[0:1], v8, v6, 0
	v_add_co_u32_e32 v2, vcc, v15, v9
	v_addc_co_u32_e32 v2, vcc, v16, v10, vcc
	v_addc_co_u32_e32 v6, vcc, 0, v14, vcc
	v_add_co_u32_e32 v2, vcc, v2, v13
	v_addc_co_u32_e32 v6, vcc, 0, v6, vcc
	v_mul_lo_u32 v13, s25, v2
	v_mul_lo_u32 v14, s24, v6
	v_mad_u64_u32 v[9:10], s[0:1], s24, v2, 0
	v_add3_u32 v10, v10, v14, v13
	v_sub_u32_e32 v13, v8, v10
	v_mov_b32_e32 v14, s25
	v_sub_co_u32_e32 v9, vcc, v7, v9
	v_subb_co_u32_e64 v13, s[0:1], v13, v14, vcc
	v_subrev_co_u32_e64 v14, s[0:1], s24, v9
	v_subbrev_co_u32_e64 v13, s[0:1], 0, v13, s[0:1]
	v_cmp_le_u32_e64 s[0:1], s25, v13
	v_cndmask_b32_e64 v15, 0, -1, s[0:1]
	v_cmp_le_u32_e64 s[0:1], s24, v14
	v_cndmask_b32_e64 v14, 0, -1, s[0:1]
	v_cmp_eq_u32_e64 s[0:1], s25, v13
	v_cndmask_b32_e64 v13, v15, v14, s[0:1]
	v_add_co_u32_e64 v15, s[0:1], 2, v2
	v_addc_co_u32_e64 v14, s[0:1], 0, v6, s[0:1]
	v_add_co_u32_e64 v16, s[0:1], 1, v2
	v_addc_co_u32_e64 v17, s[0:1], 0, v6, s[0:1]
	v_subb_co_u32_e32 v10, vcc, v8, v10, vcc
	v_cmp_ne_u32_e64 s[0:1], 0, v13
	v_cmp_le_u32_e32 vcc, s25, v10
	v_cndmask_b32_e64 v13, v17, v14, s[0:1]
	v_cndmask_b32_e64 v14, 0, -1, vcc
	v_cmp_le_u32_e32 vcc, s24, v9
	v_cndmask_b32_e64 v9, 0, -1, vcc
	v_cmp_eq_u32_e32 vcc, s25, v10
	v_cndmask_b32_e32 v9, v14, v9, vcc
	v_cmp_ne_u32_e32 vcc, 0, v9
	v_cndmask_b32_e32 v14, v6, v13, vcc
	v_cndmask_b32_e64 v6, v16, v15, s[0:1]
	v_cndmask_b32_e32 v13, v2, v6, vcc
.LBB0_4:                                ;   in Loop: Header=BB0_2 Depth=1
	s_andn2_saveexec_b64 s[0:1], s[26:27]
	s_cbranch_execz .LBB0_6
; %bb.5:                                ;   in Loop: Header=BB0_2 Depth=1
	v_cvt_f32_u32_e32 v2, s24
	s_sub_i32 s26, 0, s24
	v_mov_b32_e32 v14, v5
	v_rcp_iflag_f32_e32 v2, v2
	v_mul_f32_e32 v2, 0x4f7ffffe, v2
	v_cvt_u32_f32_e32 v2, v2
	v_mul_lo_u32 v6, s26, v2
	v_mul_hi_u32 v6, v2, v6
	v_add_u32_e32 v2, v2, v6
	v_mul_hi_u32 v2, v7, v2
	v_mul_lo_u32 v6, v2, s24
	v_add_u32_e32 v9, 1, v2
	v_sub_u32_e32 v6, v7, v6
	v_subrev_u32_e32 v10, s24, v6
	v_cmp_le_u32_e32 vcc, s24, v6
	v_cndmask_b32_e32 v6, v6, v10, vcc
	v_cndmask_b32_e32 v2, v2, v9, vcc
	v_add_u32_e32 v9, 1, v2
	v_cmp_le_u32_e32 vcc, s24, v6
	v_cndmask_b32_e32 v13, v2, v9, vcc
.LBB0_6:                                ;   in Loop: Header=BB0_2 Depth=1
	s_or_b64 exec, exec, s[0:1]
	v_mul_lo_u32 v2, v14, s24
	v_mul_lo_u32 v6, v13, s25
	v_mad_u64_u32 v[9:10], s[0:1], v13, s24, 0
	s_load_dwordx2 s[0:1], s[6:7], 0x0
	s_load_dwordx2 s[24:25], s[2:3], 0x0
	v_add3_u32 v2, v10, v6, v2
	v_sub_co_u32_e32 v6, vcc, v7, v9
	v_subb_co_u32_e32 v2, vcc, v8, v2, vcc
	s_waitcnt lgkmcnt(0)
	v_mul_lo_u32 v7, s0, v2
	v_mul_lo_u32 v8, s1, v6
	v_mad_u64_u32 v[3:4], s[0:1], s0, v6, v[3:4]
	s_add_u32 s22, s22, 1
	s_addc_u32 s23, s23, 0
	s_add_u32 s2, s2, 8
	v_mul_lo_u32 v2, s24, v2
	v_mul_lo_u32 v9, s25, v6
	v_mad_u64_u32 v[11:12], s[0:1], s24, v6, v[11:12]
	v_add3_u32 v4, v8, v4, v7
	s_addc_u32 s3, s3, 0
	v_mov_b32_e32 v6, s14
	s_add_u32 s6, s6, 8
	v_mov_b32_e32 v7, s15
	s_addc_u32 s7, s7, 0
	v_cmp_ge_u64_e32 vcc, s[22:23], v[6:7]
	s_add_u32 s20, s20, 8
	v_add3_u32 v12, v9, v12, v2
	s_addc_u32 s21, s21, 0
	s_cbranch_vccnz .LBB0_8
; %bb.7:                                ;   in Loop: Header=BB0_2 Depth=1
	v_mov_b32_e32 v7, v13
	v_mov_b32_e32 v8, v14
	s_branch .LBB0_2
.LBB0_8:
	s_lshl_b64 s[14:15], s[14:15], 3
	s_load_dwordx2 s[0:1], s[4:5], 0x28
	s_add_u32 s2, s18, s14
	s_mov_b32 s3, 0x3c3c3c4
	v_mul_hi_u32 v2, v0, s3
	s_addc_u32 s3, s19, s15
	s_load_dwordx2 s[4:5], s[2:3], 0x0
	s_waitcnt lgkmcnt(0)
	v_cmp_gt_u64_e32 vcc, s[0:1], v[13:14]
	v_mul_u32_u24_e32 v2, 0x44, v2
	v_sub_u32_e32 v15, v0, v2
	v_mov_b32_e32 v0, 0
	v_mov_b32_e32 v46, 0
	;; [unrolled: 1-line block ×3, first 2 shown]
                                        ; implicit-def: $vgpr2
                                        ; implicit-def: $vgpr39
                                        ; implicit-def: $vgpr5
                                        ; implicit-def: $vgpr38
                                        ; implicit-def: $vgpr6
                                        ; implicit-def: $vgpr37
                                        ; implicit-def: $vgpr7
                                        ; implicit-def: $vgpr35
                                        ; implicit-def: $vgpr8
                                        ; implicit-def: $vgpr34
                                        ; implicit-def: $vgpr9
                                        ; implicit-def: $vgpr33
                                        ; implicit-def: $vgpr10
                                        ; implicit-def: $vgpr31
                                        ; implicit-def: $vgpr21
                                        ; implicit-def: $vgpr30
                                        ; implicit-def: $vgpr22
                                        ; implicit-def: $vgpr32
                                        ; implicit-def: $vgpr23
                                        ; implicit-def: $vgpr36
                                        ; implicit-def: $vgpr24
                                        ; implicit-def: $vgpr40
                                        ; implicit-def: $vgpr29
                                        ; implicit-def: $vgpr45
                                        ; implicit-def: $vgpr25
                                        ; implicit-def: $vgpr44
                                        ; implicit-def: $vgpr26
                                        ; implicit-def: $vgpr43
                                        ; implicit-def: $vgpr27
                                        ; implicit-def: $vgpr42
                                        ; implicit-def: $vgpr28
                                        ; implicit-def: $vgpr41
	s_and_saveexec_b64 s[2:3], vcc
	s_cbranch_execz .LBB0_12
; %bb.9:
	v_cmp_gt_u32_e64 s[0:1], 40, v15
	v_mov_b32_e32 v46, 0
	v_mov_b32_e32 v0, 0
                                        ; implicit-def: $vgpr41
                                        ; implicit-def: $vgpr28
                                        ; implicit-def: $vgpr42
                                        ; implicit-def: $vgpr27
                                        ; implicit-def: $vgpr43
                                        ; implicit-def: $vgpr26
                                        ; implicit-def: $vgpr44
                                        ; implicit-def: $vgpr25
                                        ; implicit-def: $vgpr45
                                        ; implicit-def: $vgpr29
                                        ; implicit-def: $vgpr40
                                        ; implicit-def: $vgpr24
                                        ; implicit-def: $vgpr36
                                        ; implicit-def: $vgpr23
                                        ; implicit-def: $vgpr32
                                        ; implicit-def: $vgpr22
                                        ; implicit-def: $vgpr30
                                        ; implicit-def: $vgpr21
                                        ; implicit-def: $vgpr31
                                        ; implicit-def: $vgpr10
                                        ; implicit-def: $vgpr33
                                        ; implicit-def: $vgpr9
                                        ; implicit-def: $vgpr34
                                        ; implicit-def: $vgpr8
                                        ; implicit-def: $vgpr35
                                        ; implicit-def: $vgpr7
                                        ; implicit-def: $vgpr37
                                        ; implicit-def: $vgpr6
                                        ; implicit-def: $vgpr38
                                        ; implicit-def: $vgpr5
                                        ; implicit-def: $vgpr39
                                        ; implicit-def: $vgpr2
	s_and_saveexec_b64 s[6:7], s[0:1]
	s_cbranch_execz .LBB0_11
; %bb.10:
	s_add_u32 s0, s16, s14
	s_addc_u32 s1, s17, s15
	s_load_dwordx2 s[0:1], s[0:1], 0x0
	v_mov_b32_e32 v7, s9
	v_mov_b32_e32 v16, 0
	s_waitcnt lgkmcnt(0)
	v_mul_lo_u32 v0, s1, v13
	v_mul_lo_u32 v2, s0, v14
	v_mad_u64_u32 v[5:6], s[0:1], s0, v13, 0
	v_add3_u32 v6, v6, v2, v0
	v_lshlrev_b64 v[5:6], 2, v[5:6]
	v_lshlrev_b64 v[2:3], 2, v[3:4]
	v_add_co_u32_e64 v0, s[0:1], s8, v5
	v_addc_co_u32_e64 v5, s[0:1], v7, v6, s[0:1]
	v_add_co_u32_e64 v0, s[0:1], v0, v2
	v_addc_co_u32_e64 v4, s[0:1], v5, v3, s[0:1]
	v_lshlrev_b64 v[2:3], 2, v[15:16]
	v_add_co_u32_e64 v2, s[0:1], v0, v2
	v_addc_co_u32_e64 v3, s[0:1], v4, v3, s[0:1]
	global_load_dword v46, v[2:3], off
	global_load_dword v39, v[2:3], off offset:160
	global_load_dword v38, v[2:3], off offset:320
	;; [unrolled: 1-line block ×16, first 2 shown]
	s_waitcnt vmcnt(16)
	v_lshrrev_b32_e32 v0, 16, v46
	s_waitcnt vmcnt(15)
	v_lshrrev_b32_e32 v2, 16, v39
	;; [unrolled: 2-line block ×17, first 2 shown]
.LBB0_11:
	s_or_b64 exec, exec, s[6:7]
	v_mov_b32_e32 v16, v15
.LBB0_12:
	s_or_b64 exec, exec, s[2:3]
	s_mov_b32 s0, 0xaaaaaaab
	v_mul_hi_u32 v3, v1, s0
	v_add_f16_e32 v59, v39, v45
	v_sub_f16_e32 v57, v2, v29
	v_mul_f16_e32 v60, 0xb8d2, v59
	v_lshrrev_b32_e32 v3, 1, v3
	v_lshl_add_u32 v3, v3, 1, v3
	s_mov_b32 s0, 0xba62
	v_add_f16_e32 v65, v38, v44
	v_sub_u32_e32 v17, v1, v3
	v_fma_f16 v1, v57, s0, v60
	v_sub_f16_e32 v61, v5, v25
	v_mul_f16_e32 v62, 0xb461, v65
	s_movk_i32 s0, 0x3bb2
	v_add_f16_e32 v58, v37, v43
	v_add_f16_e32 v1, v46, v1
	v_fma_f16 v3, v61, s0, v62
	s_mov_b32 s0, 0xb5c8
	v_sub_f16_e32 v63, v6, v26
	v_mul_f16_e32 v64, 0x3b76, v58
	v_add_f16_e32 v1, v1, v3
	v_fma_f16 v3, v63, s0, v64
	v_add_f16_e32 v49, v35, v42
	v_add_f16_e32 v1, v1, v3
	s_mov_b32 s0, 0xb836
	v_sub_f16_e32 v47, v7, v27
	v_mul_f16_e32 v3, 0xbacd, v49
	v_add_f16_e32 v52, v34, v41
	v_fma_f16 v4, v47, s0, v3
	s_movk_i32 s0, 0x3bf7
	v_sub_f16_e32 v50, v8, v28
	v_mul_f16_e32 v48, 0x2de8, v52
	v_add_f16_e32 v53, v33, v40
	v_add_f16_e32 v1, v1, v4
	v_fma_f16 v4, v50, s0, v48
	s_mov_b32 s0, 0xb964
	v_sub_f16_e32 v54, v9, v24
	v_mul_f16_e32 v51, 0x39e9, v53
	v_add_f16_e32 v1, v1, v4
	v_fma_f16 v4, v54, s0, v51
	v_add_f16_e32 v55, v31, v36
	v_add_f16_e32 v1, v4, v1
	s_mov_b32 s0, 0xb1e1
	v_sub_f16_e32 v56, v10, v23
	v_mul_f16_e32 v4, 0xbbdd, v55
	v_fma_f16 v18, v56, s0, v4
	v_add_f16_e32 v66, v30, v32
	v_add_f16_e32 v18, v18, v1
	s_movk_i32 s0, 0x3b29
	v_sub_f16_e32 v67, v21, v22
	v_mul_f16_e32 v1, 0x3722, v66
	v_fma_f16 v19, v67, s0, v1
	s_mov_b32 s0, 0xbacdbbdd
	v_add_f16_e32 v18, v19, v18
	s_mov_b32 s1, 0xb836b1e1
	v_pk_mul_f16 v19, v59, s0 op_sel_hi:[0,1]
	s_mov_b32 s0, 0x37223b76
	v_pk_fma_f16 v20, v57, s1, v19 op_sel_hi:[0,1,1]
	s_mov_b32 s2, 0x3b2935c8
	v_pk_mul_f16 v69, v65, s0 op_sel_hi:[0,1]
	s_mov_b32 s0, 0x2de8bacd
	v_pk_add_f16 v20, v46, v20 op_sel_hi:[0,1]
	v_pk_fma_f16 v68, v61, s2, v69 op_sel_hi:[0,1,1]
	s_mov_b32 s3, 0xbbf7b836
	v_pk_mul_f16 v70, v58, s0 op_sel_hi:[0,1]
	s_mov_b32 s0, 0xb8d239e9
	v_pk_add_f16 v20, v20, v68
	v_pk_fma_f16 v68, v63, s3, v70 op_sel_hi:[0,1,1]
	s_mov_b32 s18, 0x3a623964
	v_pk_mul_f16 v71, v49, s0 op_sel_hi:[0,1]
	s_mov_b32 s0, 0x3b76b8d2
	v_pk_add_f16 v20, v20, v68
	;; [unrolled: 5-line block ×5, first 2 shown]
	v_pk_fma_f16 v68, v56, s21, v74 op_sel_hi:[0,1,1]
	s_mov_b32 s0, 0xb4612de8
	v_pk_mul_f16 v75, v67, s6 op_sel_hi:[0,1]
	v_pk_add_f16 v20, v68, v20
	v_pk_fma_f16 v68, v66, s0, v75 op_sel_hi:[0,1,1]
	v_pk_add_f16 v20, v68, v20
	v_pk_fma_f16 v68, v57, s1, v19 op_sel_hi:[0,1,1] neg_lo:[1,0,0] neg_hi:[1,0,0]
	v_pk_fma_f16 v69, v61, s2, v69 op_sel_hi:[0,1,1] neg_lo:[1,0,0] neg_hi:[1,0,0]
	v_add_f16_e32 v19, v46, v68
	v_add_f16_e32 v19, v19, v69
	v_pk_fma_f16 v70, v63, s3, v70 op_sel_hi:[0,1,1] neg_lo:[1,0,0] neg_hi:[1,0,0]
	v_add_f16_e32 v19, v19, v70
	v_pk_fma_f16 v71, v47, s18, v71 op_sel_hi:[0,1,1] neg_lo:[1,0,0] neg_hi:[1,0,0]
	;; [unrolled: 2-line block ×5, first 2 shown]
	v_mul_u32_u24_e32 v17, 0x2a8, v17
	v_add_f16_e32 v19, v74, v19
	v_pk_fma_f16 v75, v66, s0, v75 op_sel_hi:[0,1,1] neg_lo:[0,0,1] neg_hi:[0,0,1]
	s_mov_b32 s6, 0xb8d2
	s_mov_b32 s9, 0xb461
	s_movk_i32 s15, 0x3b76
	s_mov_b32 s7, 0xbacd
	s_movk_i32 s14, 0x2de8
	s_movk_i32 s16, 0x39e9
	s_mov_b32 s8, 0xbbdd
	s_movk_i32 s17, 0x3722
	v_add_f16_e32 v19, v75, v19
	v_cmp_gt_u32_e64 s[2:3], 40, v15
	v_lshlrev_b32_e32 v17, 1, v17
	s_and_saveexec_b64 s[0:1], s[2:3]
	s_cbranch_execz .LBB0_14
; %bb.13:
	v_pack_b32_f16 v77, v57, v57
	v_add_f16_sdwa v68, v46, v68 dst_sel:DWORD dst_unused:UNUSED_PAD src0_sel:DWORD src1_sel:WORD_1
	s_mov_b32 s18, 0xb964b5c8
	v_pack_b32_f16 v76, v59, v59
	v_pack_b32_f16 v79, v61, v61
	v_add_f16_sdwa v68, v68, v69 dst_sel:DWORD dst_unused:UNUSED_PAD src0_sel:DWORD src1_sel:WORD_1
	v_pk_mul_f16 v69, v77, s18
	s_mov_b32 s18, 0xbbf7b964
	v_pack_b32_f16 v78, v65, v65
	v_pack_b32_f16 v81, v63, v63
	v_add_f16_sdwa v68, v68, v70 dst_sel:DWORD dst_unused:UNUSED_PAD src0_sel:DWORD src1_sel:WORD_1
	v_pk_mul_f16 v70, v79, s18
	s_mov_b32 s18, 0xba62bb29
	v_fma_f16 v92, v76, s15, v69
	v_pack_b32_f16 v80, v58, v58
	v_pack_b32_f16 v83, v47, v47
	v_add_f16_sdwa v68, v68, v71 dst_sel:DWORD dst_unused:UNUSED_PAD src0_sel:DWORD src1_sel:WORD_1
	v_pk_mul_f16 v71, v81, s18
	s_mov_b32 s18, 0xb1e1bbf7
	v_add_f16_e32 v92, v46, v92
	v_fma_f16 v93, v78, s16, v70
	v_pack_b32_f16 v82, v49, v49
	v_pack_b32_f16 v85, v50, v50
	v_add_f16_sdwa v68, v68, v72 dst_sel:DWORD dst_unused:UNUSED_PAD src0_sel:DWORD src1_sel:WORD_1
	v_pk_mul_f16 v72, v83, s18
	s_mov_b32 s18, 0x3836bbb2
	v_add_f16_e32 v92, v92, v93
	v_fma_f16 v93, v80, s17, v71
	v_pack_b32_f16 v84, v52, v52
	v_pack_b32_f16 v87, v54, v54
	v_add_f16_sdwa v68, v73, v68 dst_sel:DWORD dst_unused:UNUSED_PAD src0_sel:WORD_1 src1_sel:DWORD
	v_pk_mul_f16 v73, v85, s18
	s_mov_b32 s18, 0x3bb2ba62
	v_add_f16_e32 v92, v92, v93
	v_fma_f16 v93, v82, s14, v72
	v_pack_b32_f16 v86, v53, v53
	v_pack_b32_f16 v89, v56, v56
	v_add_f16_sdwa v68, v74, v68 dst_sel:DWORD dst_unused:UNUSED_PAD src0_sel:WORD_1 src1_sel:DWORD
	v_pk_mul_f16 v74, v87, s18
	s_mov_b32 s18, 0x3b29b836
	v_add_f16_e32 v92, v92, v93
	v_fma_f16 v93, v84, s9, v73
	v_pack_b32_f16 v88, v55, v55
	v_add_f16_sdwa v68, v75, v68 dst_sel:DWORD dst_unused:UNUSED_PAD src0_sel:WORD_1 src1_sel:DWORD
	v_pk_mul_f16 v75, v89, s18
	v_add_f16_e32 v92, v92, v93
	v_fma_f16 v93, v86, s6, v74
	v_pack_b32_f16 v91, v67, v67
	s_mov_b32 s18, 0x35c8b1e1
	v_add_f16_e32 v92, v93, v92
	v_fma_f16 v93, v88, s7, v75
	v_pack_b32_f16 v90, v66, v66
	v_add_f16_e32 v92, v93, v92
	v_pk_mul_f16 v93, v91, s18
	v_fma_f16 v94, v90, s8, v93
	s_mov_b32 s6, 0x5040100
	s_mov_b32 s7, 0x39e93b76
	v_add_f16_e32 v92, v94, v92
	s_mov_b32 s8, 0x2de839e9
	v_pk_fma_f16 v69, v76, s7, v69 neg_lo:[0,0,1] neg_hi:[0,0,1]
	v_perm_b32 v94, v46, v46, s6
	v_pk_add_f16 v69, v94, v69
	v_pk_fma_f16 v70, v78, s8, v70 neg_lo:[0,0,1] neg_hi:[0,0,1]
	s_mov_b32 s9, 0xb8d23722
	v_pk_add_f16 v69, v69, v70
	v_pk_fma_f16 v70, v80, s9, v71 neg_lo:[0,0,1] neg_hi:[0,0,1]
	s_mov_b32 s14, 0xbbdd2de8
	;; [unrolled: 3-line block ×5, first 2 shown]
	s_mov_b32 s8, 0xbbf7bb29
	v_pk_add_f16 v69, v73, v69
	s_mov_b32 s18, 0x3b76bbdd
	v_pk_fma_f16 v74, v88, s17, v75 neg_lo:[0,0,1] neg_hi:[0,0,1]
	s_mov_b32 s7, 0x2de83722
	v_pk_mul_f16 v70, v77, s8
	s_mov_b32 s9, 0xb1e1ba62
	v_pk_add_f16 v69, v74, v69
	v_pk_fma_f16 v74, v90, s18, v93 neg_lo:[0,0,1] neg_hi:[0,0,1]
	s_mov_b32 s8, 0xbbddb8d2
	v_pk_mul_f16 v71, v79, s9
	s_mov_b32 s14, 0x3bb231e1
	v_pk_add_f16 v69, v74, v69
	;; [unrolled: 5-line block ×3, first 2 shown]
	v_pk_fma_f16 v75, v78, s8, v71 neg_lo:[0,0,1] neg_hi:[0,0,1]
	s_mov_b32 s14, 0x3b76b461
	v_pk_mul_f16 v73, v83, s15
	v_pk_add_f16 v74, v74, v75
	v_pk_fma_f16 v75, v80, s9, v72 neg_lo:[0,0,1] neg_hi:[0,0,1]
	s_mov_b32 s16, 0xbb293964
	v_pk_add_f16 v74, v74, v75
	v_pk_fma_f16 v75, v82, s14, v73 neg_lo:[0,0,1] neg_hi:[0,0,1]
	s_mov_b32 s15, 0x372239e9
	v_pk_add_f16 v74, v74, v75
	v_pk_mul_f16 v75, v85, s16
	v_pk_fma_f16 v93, v84, s15, v75 neg_lo:[0,0,1] neg_hi:[0,0,1]
	s_mov_b32 s17, 0xb836b5c8
	v_pk_add_f16 v74, v74, v93
	s_mov_b32 s16, 0xbacd3b76
	v_pk_mul_f16 v93, v87, s17
	v_pk_fma_f16 v95, v86, s16, v93 neg_lo:[0,0,1] neg_hi:[0,0,1]
	s_mov_b32 s18, 0x3a62bbf7
	v_pk_add_f16 v74, v95, v74
	s_mov_b32 s17, 0xb8d22de8
	;; [unrolled: 5-line block ×3, first 2 shown]
	v_pk_mul_f16 v96, v91, s19
	v_pk_fma_f16 v97, v90, s18, v96 neg_lo:[0,0,1] neg_hi:[0,0,1]
	v_pk_add_f16 v74, v97, v74
	v_mul_f16_e32 v59, 0xb461, v59
	v_mul_f16_e32 v97, 0xba62, v57
	;; [unrolled: 1-line block ×3, first 2 shown]
	v_perm_b32 v60, v60, v59, s6
	v_perm_b32 v97, v97, v57, s6
	v_pk_add_f16 v60, v60, v97 neg_lo:[0,1] neg_hi:[0,1]
	v_mul_f16_e32 v65, 0xbacd, v65
	v_mul_f16_e32 v97, 0x3bb2, v61
	;; [unrolled: 1-line block ×3, first 2 shown]
	v_perm_b32 v62, v62, v65, s6
	v_perm_b32 v97, v97, v61, s6
	v_pk_add_f16 v62, v62, v97 neg_lo:[0,1] neg_hi:[0,1]
	v_pk_add_f16 v60, v94, v60
	v_pk_add_f16 v60, v60, v62
	v_mul_f16_e32 v58, 0x39e9, v58
	v_mul_f16_e32 v62, 0xb5c8, v63
	;; [unrolled: 1-line block ×3, first 2 shown]
	v_perm_b32 v64, v64, v58, s6
	v_perm_b32 v62, v62, v63, s6
	v_pk_add_f16 v62, v64, v62 neg_lo:[0,1] neg_hi:[0,1]
	v_pk_add_f16 v60, v60, v62
	v_mul_f16_e32 v62, 0x3722, v49
	v_mul_f16_e32 v49, 0xb836, v47
	;; [unrolled: 1-line block ×3, first 2 shown]
	v_perm_b32 v3, v3, v62, s6
	v_perm_b32 v47, v49, v64, s6
	v_pk_add_f16 v3, v3, v47 neg_lo:[0,1] neg_hi:[0,1]
	v_mul_f16_e32 v52, 0xbbdd, v52
	v_mul_f16_e32 v47, 0x3bf7, v50
	v_mul_f16_e32 v50, 0xb1e1, v50
	v_perm_b32 v48, v48, v52, s6
	v_perm_b32 v47, v47, v50, s6
	v_pk_add_f16 v3, v60, v3
	v_pk_add_f16 v47, v48, v47 neg_lo:[0,1] neg_hi:[0,1]
	v_pk_add_f16 v3, v3, v47
	v_mul_f16_e32 v47, 0xb964, v54
	v_mul_f16_e32 v53, 0x2de8, v53
	;; [unrolled: 1-line block ×3, first 2 shown]
	v_perm_b32 v48, v51, v53, s6
	v_perm_b32 v47, v47, v54, s6
	v_pk_add_f16 v47, v48, v47 neg_lo:[0,1] neg_hi:[0,1]
	v_mul_f16_e32 v48, 0xb1e1, v56
	v_mul_f16_e32 v51, 0x3b76, v55
	;; [unrolled: 1-line block ×3, first 2 shown]
	v_perm_b32 v4, v4, v51, s6
	v_perm_b32 v48, v48, v55, s6
	v_pk_add_f16 v3, v47, v3
	v_mul_f16_e32 v47, 0x3b29, v67
	v_mul_f16_e32 v56, 0xb8d2, v66
	;; [unrolled: 1-line block ×3, first 2 shown]
	v_pk_add_f16 v4, v4, v48 neg_lo:[0,1] neg_hi:[0,1]
	v_pk_add_f16 v3, v4, v3
	v_perm_b32 v1, v1, v56, s6
	v_perm_b32 v4, v47, v60, s6
	v_pk_add_f16 v1, v1, v4 neg_lo:[0,1] neg_hi:[0,1]
	v_add_f16_e32 v4, v46, v39
	v_add_f16_e32 v4, v4, v38
	;; [unrolled: 1-line block ×11, first 2 shown]
	v_pk_mul_f16 v66, v76, s7
	v_pk_add_f16 v1, v1, v3
	v_add_f16_e32 v4, v4, v41
	s_mov_b32 s7, 0xffff
	v_alignbit_b32 v49, v68, v1, 16
	v_alignbit_b32 v48, v1, v74, 16
	v_pk_mul_f16 v1, v78, s8
	v_add_f16_e32 v4, v42, v4
	v_bfi_b32 v57, s7, v57, v70
	v_bfi_b32 v59, s7, v59, v66
	v_add_f16_e32 v4, v43, v4
	v_pk_add_f16 v57, v57, v59
	v_bfi_b32 v59, s7, v61, v71
	v_bfi_b32 v1, s7, v65, v1
	v_pk_mul_f16 v3, v80, s9
	v_add_f16_e32 v4, v44, v4
	v_pk_add_f16 v57, v94, v57
	v_pk_add_f16 v1, v59, v1
	v_add_f16_e32 v4, v45, v4
	v_pk_add_f16 v1, v57, v1
	v_bfi_b32 v57, s7, v63, v72
	v_bfi_b32 v3, s7, v58, v3
	v_pack_b32_f16 v46, v4, v69
	v_pk_mul_f16 v4, v82, s14
	v_mul_u32_u24_e32 v67, 34, v15
	v_pk_add_f16 v3, v57, v3
	v_alignbit_b32 v47, v74, v69, 16
	v_add3_u32 v67, 0, v67, v17
	v_pk_add_f16 v1, v1, v3
	v_bfi_b32 v3, s7, v64, v73
	v_bfi_b32 v4, s7, v62, v4
	ds_write_b128 v67, v[46:49]
	v_pk_mul_f16 v46, v84, s15
	v_pk_add_f16 v3, v3, v4
	v_pk_add_f16 v1, v1, v3
	v_bfi_b32 v3, s7, v50, v75
	v_bfi_b32 v4, s7, v52, v46
	v_pk_mul_f16 v47, v86, s16
	v_pk_add_f16 v3, v3, v4
	v_pk_add_f16 v1, v1, v3
	v_bfi_b32 v3, s7, v54, v93
	v_bfi_b32 v4, s7, v53, v47
	v_pk_mul_f16 v48, v88, s17
	v_pk_add_f16 v3, v3, v4
	v_pk_add_f16 v1, v3, v1
	v_bfi_b32 v3, s7, v55, v95
	v_bfi_b32 v4, s7, v51, v48
	v_pk_mul_f16 v49, v90, s18
	v_pk_add_f16 v3, v3, v4
	v_pk_add_f16 v1, v3, v1
	v_bfi_b32 v3, s7, v60, v96
	v_bfi_b32 v4, s7, v56, v49
	v_pk_add_f16 v3, v3, v4
	s_mov_b32 s8, 0x39e93722
	v_pk_add_f16 v48, v3, v1
	s_mov_b32 s7, 0xb964bb29
	v_pk_mul_f16 v1, v76, s8
	s_mov_b32 s8, 0x2de8b8d2
	v_pk_fma_f16 v1, v77, s7, v1
	s_mov_b32 s7, 0xbbf7ba62
	v_pk_mul_f16 v3, v78, s8
	v_pk_add_f16 v1, v94, v1
	v_pk_fma_f16 v3, v79, s7, v3
	s_mov_b32 s8, 0xb8d2bbdd
	v_pk_add_f16 v1, v1, v3
	s_mov_b32 s7, 0xba6231e1
	v_pk_mul_f16 v3, v80, s8
	v_pk_fma_f16 v3, v81, s7, v3
	s_mov_b32 s8, 0xbbddb461
	v_pk_add_f16 v1, v1, v3
	s_mov_b32 s7, 0xb1e13bb2
	v_pk_mul_f16 v3, v82, s8
	;; [unrolled: 5-line block ×6, first 2 shown]
	v_pk_fma_f16 v3, v91, s7, v3
	v_pk_add_f16 v49, v3, v1
	v_perm_b32 v46, v20, v19, s6
	v_alignbit_b32 v47, v18, v20, 16
	ds_write_b128 v67, v[46:49] offset:16
	ds_write_b16 v67, v92 offset:32
.LBB0_14:
	s_or_b64 exec, exec, s[0:1]
	v_lshlrev_b32_e32 v1, 1, v15
	v_add_u32_e32 v4, 0, v1
	v_add3_u32 v47, 0, v17, v1
	v_add_u32_e32 v46, v4, v17
	s_waitcnt lgkmcnt(0)
	s_barrier
	ds_read_u16 v50, v47
	ds_read_u16 v52, v46 offset:1156
	ds_read_u16 v53, v46 offset:1020
	;; [unrolled: 1-line block ×7, first 2 shown]
	v_cmp_gt_u32_e64 s[0:1], 34, v15
	s_and_saveexec_b64 s[6:7], s[0:1]
	s_cbranch_execz .LBB0_16
; %bb.15:
	ds_read_u16 v19, v46 offset:272
	ds_read_u16 v1, v46 offset:612
	;; [unrolled: 1-line block ×4, first 2 shown]
	s_mov_b32 s8, 0x5040100
	s_waitcnt lgkmcnt(1)
	v_perm_b32 v20, v3, v1, s8
.LBB0_16:
	s_or_b64 exec, exec, s[6:7]
	v_sub_f16_e32 v45, v39, v45
	v_add_f16_e32 v3, v2, v29
	v_mul_f16_e32 v1, 0xb1e1, v45
	s_mov_b32 s6, 0xbbdd
	v_sub_f16_e32 v44, v38, v44
	v_fma_f16 v39, v3, s6, v1
	v_add_f16_e32 v56, v5, v25
	v_mul_f16_e32 v38, 0x35c8, v44
	s_movk_i32 s14, 0x3b76
	v_add_f16_e32 v39, v0, v39
	v_fma_f16 v1, v3, s6, -v1
	v_fma_f16 v57, v56, s14, v38
	v_sub_f16_e32 v43, v37, v43
	v_add_f16_e32 v1, v0, v1
	v_add_f16_e32 v39, v39, v57
	v_fma_f16 v38, v56, s14, -v38
	v_add_f16_e32 v57, v6, v26
	v_mul_f16_e32 v37, 0xb836, v43
	s_mov_b32 s8, 0xbacd
	v_sub_f16_e32 v42, v35, v42
	v_add_f16_e32 v1, v1, v38
	v_fma_f16 v38, v57, s8, v37
	v_fma_f16 v37, v57, s8, -v37
	v_add_f16_e32 v58, v7, v27
	v_mul_f16_e32 v35, 0x3964, v42
	s_movk_i32 s15, 0x39e9
	v_sub_f16_e32 v60, v34, v41
	v_add_f16_e32 v38, v39, v38
	v_add_f16_e32 v1, v1, v37
	v_fma_f16 v37, v58, s15, v35
	v_fma_f16 v35, v58, s15, -v35
	v_add_f16_e32 v59, v8, v28
	v_mul_f16_e32 v34, 0xba62, v60
	s_mov_b32 s9, 0xb8d2
	v_sub_f16_e32 v62, v33, v40
	v_add_f16_e32 v37, v38, v37
	v_add_f16_e32 v1, v1, v35
	v_fma_f16 v35, v59, s9, v34
	v_fma_f16 v34, v59, s9, -v34
	v_add_f16_e32 v61, v9, v24
	v_mul_f16_e32 v33, 0x3b29, v62
	s_movk_i32 s17, 0x3722
	v_sub_f16_e32 v64, v31, v36
	v_add_f16_e32 v35, v37, v35
	v_add_f16_e32 v1, v1, v34
	v_fma_f16 v34, v61, s17, v33
	v_fma_f16 v33, v61, s17, -v33
	v_add_f16_e32 v63, v10, v23
	v_mul_f16_e32 v31, 0xbbb2, v64
	s_mov_b32 s16, 0xb461
	s_mov_b32 s6, 0xba62b836
	v_add_f16_e32 v34, v34, v35
	v_add_f16_e32 v1, v33, v1
	v_fma_f16 v33, v63, s16, v31
	v_fma_f16 v31, v63, s16, -v31
	v_sub_f16_e32 v41, v30, v32
	s_mov_b32 s19, 0xb8d2bacd
	v_pk_mul_f16 v32, v45, s6 op_sel_hi:[0,1]
	s_mov_b32 s6, 0x3bb23b29
	v_add_f16_e32 v65, v33, v34
	v_add_f16_e32 v31, v31, v1
	v_pk_fma_f16 v1, v3, s19, v32 op_sel_hi:[0,1,1] neg_lo:[0,0,1] neg_hi:[0,0,1]
	s_mov_b32 s20, 0xb4613722
	v_pk_mul_f16 v33, v44, s6 op_sel_hi:[0,1]
	s_mov_b32 s6, 0xb5c8bbf7
	v_pk_add_f16 v1, v0, v1 op_sel_hi:[0,1]
	v_pk_fma_f16 v30, v56, s20, v33 op_sel_hi:[0,1,1] neg_lo:[0,0,1] neg_hi:[0,0,1]
	s_mov_b32 s21, 0x3b762de8
	v_pk_mul_f16 v34, v43, s6 op_sel_hi:[0,1]
	s_mov_b32 s6, 0xb8363a62
	v_pk_add_f16 v1, v1, v30
	v_pk_fma_f16 v30, v57, s21, v34 op_sel_hi:[0,1,1] neg_lo:[0,0,1] neg_hi:[0,0,1]
	s_mov_b32 s22, 0xbacdb8d2
	v_pk_mul_f16 v35, v42, s6 op_sel_hi:[0,1]
	s_mov_b32 s6, 0x3bf7b5c8
	v_pk_add_f16 v1, v1, v30
	;; [unrolled: 5-line block ×4, first 2 shown]
	v_pk_fma_f16 v30, v61, s24, v38 op_sel_hi:[0,1,1] neg_lo:[0,0,1] neg_hi:[0,0,1]
	s_mov_b32 s25, 0xbbdd39e9
	v_pk_mul_f16 v39, v64, s6 op_sel_hi:[0,1]
	s_mov_b32 s6, 0x3b29bbb2
	v_add_f16_e32 v40, v21, v22
	v_pk_add_f16 v1, v30, v1
	v_pk_fma_f16 v30, v63, s25, v39 op_sel_hi:[0,1,1] neg_lo:[0,0,1] neg_hi:[0,0,1]
	s_mov_b32 s26, 0x3722b461
	v_pk_mul_f16 v37, v41, s6 op_sel_hi:[0,1]
	v_pk_add_f16 v1, v30, v1
	v_pk_fma_f16 v30, v40, s26, v37 op_sel_hi:[0,1,1] neg_lo:[0,0,1] neg_hi:[0,0,1]
	v_mul_f16_e32 v66, 0x3bf7, v41
	s_movk_i32 s18, 0x2de8
	v_pk_add_f16 v1, v30, v1
	v_fma_f16 v30, v40, s18, v66
	v_add_f16_e32 v30, v30, v65
	v_fma_f16 v65, v40, s18, -v66
	v_add_f16_e32 v31, v65, v31
	s_waitcnt lgkmcnt(0)
	s_barrier
	s_and_saveexec_b64 s[6:7], s[2:3]
	s_cbranch_execz .LBB0_18
; %bb.17:
	v_add_f16_e32 v2, v0, v2
	v_add_f16_e32 v2, v2, v5
	;; [unrolled: 1-line block ×14, first 2 shown]
	v_pack_b32_f16 v66, v45, v45
	v_pk_mul_f16 v82, v3, s19 op_sel_hi:[0,1]
	v_add_f16_e32 v2, v25, v2
	s_mov_b32 s19, 0xb964b5c8
	v_pack_b32_f16 v65, v3, v3
	v_add_f16_e32 v8, v29, v2
	v_pk_mul_f16 v2, v66, s19
	s_mov_b32 s2, 0x5040100
	v_pack_b32_f16 v69, v44, v44
	v_mul_f16_e32 v5, 0xb461, v3
	s_mov_b32 s3, 0x39e93b76
	v_fma_f16 v3, v65, s14, -v2
	s_mov_b32 s14, 0xbbf7b964
	v_perm_b32 v67, v0, v0, s2
	v_pack_b32_f16 v68, v56, v56
	v_pack_b32_f16 v73, v42, v42
	v_mul_f16_e32 v23, 0xbb29, v42
	v_pk_fma_f16 v2, v65, s3, v2
	s_mov_b32 s3, 0x2de839e9
	v_pk_mul_f16 v42, v69, s14
	v_pack_b32_f16 v71, v43, v43
	v_mul_f16_e32 v21, 0x3964, v43
	v_pk_add_f16 v2, v67, v2
	v_fma_f16 v43, v68, s15, -v42
	v_pk_fma_f16 v42, v68, s3, v42
	s_mov_b32 s14, 0xba62bb29
	v_pack_b32_f16 v70, v57, v57
	v_add_f16_e32 v3, v0, v3
	v_pk_add_f16 v2, v2, v42
	s_mov_b32 s3, 0xb8d23722
	v_pk_mul_f16 v42, v71, s14
	v_add_f16_e32 v3, v3, v43
	v_fma_f16 v43, v70, s17, -v42
	v_pk_fma_f16 v42, v70, s3, v42
	s_mov_b32 s14, 0xb1e1bbf7
	v_pack_b32_f16 v72, v58, v58
	v_pk_add_f16 v2, v2, v42
	s_mov_b32 s3, 0xbbdd2de8
	v_pk_mul_f16 v42, v73, s14
	v_pack_b32_f16 v75, v60, v60
	v_add_f16_e32 v3, v3, v43
	v_fma_f16 v43, v72, s18, -v42
	v_pk_fma_f16 v42, v72, s3, v42
	s_mov_b32 s14, 0x3836bbb2
	v_pack_b32_f16 v74, v59, v59
	v_pk_add_f16 v2, v2, v42
	s_mov_b32 s3, 0xbacdb461
	v_pk_mul_f16 v42, v75, s14
	v_pack_b32_f16 v77, v62, v62
	v_add_f16_e32 v3, v3, v43
	v_fma_f16 v43, v74, s16, -v42
	v_pk_fma_f16 v42, v74, s3, v42
	s_mov_b32 s14, 0x3bb2ba62
	v_pack_b32_f16 v76, v61, v61
	v_pk_add_f16 v2, v2, v42
	s_mov_b32 s3, 0xb461b8d2
	v_pk_mul_f16 v42, v77, s14
	v_pack_b32_f16 v79, v64, v64
	v_add_f16_e32 v3, v3, v43
	v_fma_f16 v43, v76, s9, -v42
	v_pk_fma_f16 v42, v76, s3, v42
	s_mov_b32 s9, 0x3b29b836
	v_pack_b32_f16 v78, v63, v63
	v_pk_add_f16 v2, v42, v2
	v_pk_mul_f16 v42, v79, s9
	v_pack_b32_f16 v81, v41, v41
	v_add_f16_e32 v3, v43, v3
	s_mov_b32 s3, 0x3722bacd
	v_fma_f16 v43, v78, s8, -v42
	s_mov_b32 s8, 0x35c8b1e1
	v_pack_b32_f16 v80, v40, v40
	v_add_f16_e32 v3, v43, v3
	v_pk_fma_f16 v42, v78, s3, v42
	s_mov_b32 s3, 0x3b76bbdd
	v_pk_mul_f16 v43, v81, s8
	v_mul_f16_e32 v9, 0x3836, v44
	v_pk_add_f16 v2, v42, v2
	v_pk_mul_f16 v42, v80, s3
	v_pk_fma_f16 v44, v80, s3, v43
	s_mov_b32 s8, 0xbbf7bb29
	v_sub_f16_e32 v42, v42, v43
	v_pk_add_f16 v43, v44, v2
	s_mov_b32 s3, 0x2de83722
	v_pk_mul_f16 v44, v66, s8
	s_mov_b32 s8, 0xb1e1ba62
	v_pk_mul_f16 v83, v56, s20 op_sel_hi:[0,1]
	v_mul_f16_e32 v7, 0xbacd, v56
	v_add_f16_e32 v42, v42, v3
	v_pk_mul_f16 v2, v65, s3
	v_pk_fma_f16 v3, v65, s3, v44
	s_mov_b32 s3, 0xbbddb8d2
	v_pk_mul_f16 v56, v69, s8
	s_mov_b32 s8, 0x3bb231e1
	v_pk_mul_f16 v84, v57, s21 op_sel_hi:[0,1]
	v_pk_mul_f16 v85, v58, s22 op_sel_hi:[0,1]
	v_mul_f16_e32 v6, 0xbbb2, v45
	v_mul_f16_e32 v10, 0x39e9, v57
	;; [unrolled: 1-line block ×3, first 2 shown]
	v_pk_add_f16 v3, v67, v3
	v_pk_mul_f16 v45, v68, s3
	v_pk_fma_f16 v57, v68, s3, v56
	s_mov_b32 s3, 0xb461bbdd
	v_pk_mul_f16 v58, v71, s8
	s_mov_b32 s8, 0x35c83bb2
	v_pk_mul_f16 v86, v59, s23 op_sel_hi:[0,1]
	v_mul_f16_e32 v24, 0xbbdd, v59
	v_mul_f16_e32 v25, 0xb1e1, v60
	v_pk_add_f16 v3, v3, v57
	v_pk_mul_f16 v57, v70, s3
	v_pk_fma_f16 v59, v70, s3, v58
	s_mov_b32 s3, 0x3b76b461
	v_pk_mul_f16 v60, v73, s8
	s_mov_b32 s8, 0xbb293964
	v_pk_mul_f16 v87, v61, s24 op_sel_hi:[0,1]
	v_mul_f16_e32 v26, 0x2de8, v61
	v_mul_f16_e32 v27, 0x3bf7, v62
	;; [unrolled: 9-line block ×3, first 2 shown]
	v_pk_add_f16 v3, v3, v61
	v_pk_mul_f16 v61, v74, s3
	v_pk_fma_f16 v63, v74, s3, v62
	s_mov_b32 s3, 0xbacd3b76
	v_pk_mul_f16 v64, v77, s8
	s_mov_b32 s8, 0x3a62bbf7
	v_pk_add_f16 v3, v3, v63
	v_pk_mul_f16 v63, v76, s3
	v_pk_fma_f16 v90, v76, s3, v64
	s_mov_b32 s3, 0xb8d22de8
	v_pk_mul_f16 v91, v79, s8
	s_mov_b32 s8, 0x3964b836
	;; [unrolled: 6-line block ×4, first 2 shown]
	v_pk_fma_f16 v3, v65, s3, v3
	s_mov_b32 s3, 0x2de8b8d2
	v_pk_mul_f16 v65, v69, s8
	v_pk_add_f16 v3, v67, v3
	v_pk_fma_f16 v65, v68, s3, v65
	s_mov_b32 s8, 0x3a62b1e1
	v_pk_add_f16 v3, v3, v65
	s_mov_b32 s3, 0xb8d2bbdd
	v_pk_mul_f16 v65, v71, s8
	v_pk_fma_f16 v65, v70, s3, v65
	s_mov_b32 s8, 0x31e1bbb2
	v_pk_add_f16 v3, v3, v65
	s_mov_b32 s3, 0xbbddb461
	v_pk_mul_f16 v65, v73, s8
	;; [unrolled: 5-line block ×6, first 2 shown]
	v_pk_fma_f16 v65, v80, s3, v65
	s_mov_b32 s3, 0xffff
	v_bfi_b32 v2, s3, v5, v2
	v_bfi_b32 v44, s3, v6, v44
	v_pk_add_f16 v2, v2, v44 neg_lo:[0,1] neg_hi:[0,1]
	v_bfi_b32 v44, s3, v7, v45
	v_bfi_b32 v45, s3, v9, v56
	v_pk_add_f16 v2, v67, v2
	v_pk_add_f16 v44, v44, v45 neg_lo:[0,1] neg_hi:[0,1]
	v_pk_add_f16 v2, v2, v44
	v_bfi_b32 v44, s3, v10, v57
	v_bfi_b32 v45, s3, v21, v58
	v_pk_add_f16 v44, v44, v45 neg_lo:[0,1] neg_hi:[0,1]
	v_pk_add_f16 v2, v2, v44
	v_bfi_b32 v44, s3, v22, v59
	v_bfi_b32 v45, s3, v23, v60
	;; [unrolled: 4-line block ×3, first 2 shown]
	v_bfi_b32 v5, s3, v5, v82
	v_bfi_b32 v6, s3, v6, v32
	v_pk_add_f16 v44, v44, v45 neg_lo:[0,1] neg_hi:[0,1]
	v_pk_add_f16 v5, v5, v6
	v_bfi_b32 v6, s3, v7, v83
	v_bfi_b32 v7, s3, v9, v33
	v_pk_add_f16 v2, v2, v44
	v_bfi_b32 v44, s3, v26, v63
	v_bfi_b32 v45, s3, v27, v64
	v_pk_add_f16 v5, v67, v5
	v_pk_add_f16 v6, v6, v7
	v_pk_add_f16 v44, v44, v45 neg_lo:[0,1] neg_hi:[0,1]
	v_pk_add_f16 v5, v5, v6
	v_bfi_b32 v6, s3, v10, v84
	v_bfi_b32 v7, s3, v21, v34
	v_pk_add_f16 v2, v44, v2
	v_bfi_b32 v44, s3, v28, v90
	v_bfi_b32 v45, s3, v29, v91
	v_pk_add_f16 v6, v6, v7
	v_pk_mul_f16 v89, v40, s26 op_sel_hi:[0,1]
	v_mul_f16_e32 v40, 0xb8d2, v40
	v_mul_f16_e32 v41, 0xba62, v41
	v_pk_add_f16 v44, v44, v45 neg_lo:[0,1] neg_hi:[0,1]
	v_pk_add_f16 v5, v5, v6
	v_bfi_b32 v6, s3, v22, v85
	v_bfi_b32 v7, s3, v23, v35
	v_pk_add_f16 v2, v44, v2
	v_bfi_b32 v44, s3, v40, v93
	v_bfi_b32 v45, s3, v41, v94
	v_pk_add_f16 v6, v6, v7
	v_pk_add_f16 v44, v44, v45 neg_lo:[0,1] neg_hi:[0,1]
	v_pk_add_f16 v5, v5, v6
	v_bfi_b32 v6, s3, v24, v86
	v_bfi_b32 v7, s3, v25, v36
	v_pk_add_f16 v2, v44, v2
	v_add_f16_e32 v44, v82, v32
	v_pk_add_f16 v6, v6, v7
	v_add_f16_e32 v0, v0, v44
	v_add_f16_e32 v44, v83, v33
	v_pk_add_f16 v5, v5, v6
	v_bfi_b32 v6, s3, v26, v87
	v_bfi_b32 v7, s3, v27, v38
	v_add_f16_e32 v0, v0, v44
	v_add_f16_e32 v44, v84, v34
	v_pk_add_f16 v6, v6, v7
	v_add_f16_e32 v0, v0, v44
	v_add_f16_e32 v44, v85, v35
	v_pk_add_f16 v5, v6, v5
	v_bfi_b32 v6, s3, v28, v88
	v_bfi_b32 v7, s3, v29, v39
	v_add_f16_e32 v0, v0, v44
	;; [unrolled: 8-line block ×3, first 2 shown]
	v_add_f16_e32 v44, v88, v39
	v_pk_add_f16 v6, v6, v7
	v_add_f16_e32 v0, v44, v0
	v_pk_add_f16 v6, v6, v5
	v_add_f16_e32 v5, v89, v37
	v_pk_add_f16 v3, v65, v3
	v_pk_add_f16 v65, v95, v92
	v_add_f16_e32 v0, v5, v0
	v_lshlrev_b32_e32 v5, 5, v15
	v_add3_u32 v9, v4, v5, v17
	v_alignbit_b32 v7, v0, v6, 16
	v_alignbit_b32 v5, v65, v43, 16
	;; [unrolled: 1-line block ×3, first 2 shown]
	v_pack_b32_f16 v4, v8, v43
	v_perm_b32 v0, v31, v30, s2
	ds_write_b128 v9, v[4:7]
	ds_write_b128 v9, v[0:3] offset:16
	ds_write_b16 v9, v42 offset:32
.LBB0_18:
	s_or_b64 exec, exec, s[6:7]
	s_waitcnt lgkmcnt(0)
	s_barrier
	ds_read_u16 v0, v47
	ds_read_u16 v27, v46 offset:1156
	ds_read_u16 v28, v46 offset:1020
	;; [unrolled: 1-line block ×7, first 2 shown]
	s_and_saveexec_b64 s[2:3], s[0:1]
	s_cbranch_execz .LBB0_20
; %bb.19:
	ds_read_u16 v1, v46 offset:952
	ds_read_u16 v2, v46 offset:1292
	;; [unrolled: 1-line block ×4, first 2 shown]
	s_mov_b32 s6, 0x5040100
	s_waitcnt lgkmcnt(2)
	v_perm_b32 v1, v2, v1, s6
.LBB0_20:
	s_or_b64 exec, exec, s[2:3]
	s_movk_i32 s2, 0xf1
	v_mul_lo_u16_sdwa v2, v15, s2 dst_sel:DWORD dst_unused:UNUSED_PAD src0_sel:BYTE_0 src1_sel:DWORD
	v_add_u16_e32 v4, 0x44, v15
	v_lshrrev_b16_e32 v33, 12, v2
	v_mul_lo_u16_sdwa v5, v4, s2 dst_sel:DWORD dst_unused:UNUSED_PAD src0_sel:BYTE_0 src1_sel:DWORD
	v_mul_lo_u16_e32 v2, 17, v33
	v_lshrrev_b16_e32 v36, 12, v5
	v_sub_u16_e32 v34, v15, v2
	v_mov_b32_e32 v2, 3
	v_mul_lo_u16_e32 v5, 17, v36
	v_mul_u32_u24_sdwa v3, v34, v2 dst_sel:DWORD dst_unused:UNUSED_PAD src0_sel:BYTE_0 src1_sel:DWORD
	v_sub_u16_e32 v37, v4, v5
	v_lshlrev_b32_e32 v3, 2, v3
	v_mul_u32_u24_sdwa v4, v37, v2 dst_sel:DWORD dst_unused:UNUSED_PAD src0_sel:BYTE_0 src1_sel:DWORD
	global_load_dwordx3 v[5:7], v3, s[12:13]
	v_lshlrev_b32_e32 v3, 2, v4
	global_load_dwordx3 v[8:10], v3, s[12:13]
	v_add_u16_e32 v3, 0x88, v15
	v_mul_lo_u16_sdwa v4, v3, s2 dst_sel:DWORD dst_unused:UNUSED_PAD src0_sel:BYTE_0 src1_sel:DWORD
	v_lshrrev_b16_e32 v24, 12, v4
	v_mul_lo_u16_e32 v4, 17, v24
	v_sub_u16_e32 v25, v3, v4
	v_mul_u32_u24_sdwa v2, v25, v2 dst_sel:DWORD dst_unused:UNUSED_PAD src0_sel:BYTE_0 src1_sel:DWORD
	v_lshlrev_b32_e32 v2, 2, v2
	global_load_dwordx3 v[2:4], v2, s[12:13]
	s_movk_i32 s6, 0x88
	v_mov_b32_e32 v35, 1
	v_mad_u32_u24 v33, v33, s6, 0
	v_mad_u32_u24 v36, v36, s6, 0
	v_lshlrev_b32_sdwa v34, v35, v34 dst_sel:DWORD dst_unused:UNUSED_PAD src0_sel:DWORD src1_sel:BYTE_0
	v_lshlrev_b32_sdwa v37, v35, v37 dst_sel:DWORD dst_unused:UNUSED_PAD src0_sel:DWORD src1_sel:BYTE_0
	v_lshrrev_b32_e32 v38, 16, v1
	v_add3_u32 v34, v33, v34, v17
	v_add3_u32 v33, v36, v37, v17
	v_lshrrev_b32_e32 v26, 16, v20
	s_waitcnt vmcnt(0) lgkmcnt(0)
	s_barrier
	v_mul_f16_sdwa v36, v32, v5 dst_sel:DWORD dst_unused:UNUSED_PAD src0_sel:DWORD src1_sel:WORD_1
	v_mul_f16_sdwa v37, v55, v5 dst_sel:DWORD dst_unused:UNUSED_PAD src0_sel:DWORD src1_sel:WORD_1
	;; [unrolled: 1-line block ×14, first 2 shown]
	v_fma_f16 v36, v55, v5, -v36
	v_fma_f16 v32, v32, v5, v37
	v_fma_f16 v37, v49, v6, -v39
	v_fma_f16 v39, v53, v7, -v40
	v_fma_f16 v7, v28, v7, v41
	v_fma_f16 v40, v54, v8, -v42
	v_fma_f16 v5, v29, v8, v43
	v_fma_f16 v28, v48, v9, -v44
	v_fma_f16 v29, v52, v10, -v45
	v_fma_f16 v27, v27, v10, v56
	v_fma_f16 v10, v20, v2, -v57
	v_fma_f16 v20, v31, v2, v58
	;; [unrolled: 2-line block ×3, first 2 shown]
	v_sub_f16_e32 v37, v50, v37
	v_sub_f16_e32 v4, v36, v39
	;; [unrolled: 1-line block ×8, first 2 shown]
	v_fma_f16 v18, v50, 2.0, -v37
	v_fma_f16 v29, v36, 2.0, -v4
	v_sub_f16_e32 v31, v37, v8
	v_fma_f16 v36, v51, 2.0, -v38
	v_fma_f16 v39, v40, 2.0, -v2
	v_sub_f16_e32 v40, v38, v7
	v_sub_f16_e32 v29, v18, v29
	v_fma_f16 v37, v37, 2.0, -v31
	v_sub_f16_e32 v39, v36, v39
	v_fma_f16 v38, v38, 2.0, -v40
	ds_write_b16 v34, v31 offset:102
	v_fma_f16 v18, v18, 2.0, -v29
	v_fma_f16 v31, v36, 2.0, -v39
	ds_write_b16 v34, v37 offset:34
	ds_write_b16 v34, v29 offset:68
	ds_write_b16 v34, v18
	ds_write_b16 v33, v31
	ds_write_b16 v33, v38 offset:34
	ds_write_b16 v33, v39 offset:68
	;; [unrolled: 1-line block ×3, first 2 shown]
	s_and_saveexec_b64 s[2:3], s[0:1]
	s_cbranch_execz .LBB0_22
; %bb.21:
	v_mul_f16_sdwa v18, v1, v3 dst_sel:DWORD dst_unused:UNUSED_PAD src0_sel:DWORD src1_sel:WORD_1
	v_fma_f16 v18, v26, v3, -v18
	v_sub_f16_e32 v18, v19, v18
	v_sub_f16_e32 v29, v18, v28
	v_fma_f16 v31, v18, 2.0, -v29
	v_fma_f16 v18, v19, 2.0, -v18
	;; [unrolled: 1-line block ×3, first 2 shown]
	v_sub_f16_e32 v10, v18, v10
	v_mad_u32_u24 v19, v24, s6, 0
	v_lshlrev_b32_sdwa v35, v35, v25 dst_sel:DWORD dst_unused:UNUSED_PAD src0_sel:DWORD src1_sel:BYTE_0
	v_fma_f16 v18, v18, 2.0, -v10
	v_add3_u32 v19, v19, v35, v17
	ds_write_b16 v19, v18
	ds_write_b16 v19, v31 offset:34
	ds_write_b16 v19, v10 offset:68
	;; [unrolled: 1-line block ×3, first 2 shown]
.LBB0_22:
	s_or_b64 exec, exec, s[2:3]
	v_mul_f16_sdwa v10, v49, v6 dst_sel:DWORD dst_unused:UNUSED_PAD src0_sel:DWORD src1_sel:WORD_1
	v_fma_f16 v6, v23, v6, v10
	v_sub_f16_e32 v6, v0, v6
	v_mul_f16_sdwa v10, v48, v9 dst_sel:DWORD dst_unused:UNUSED_PAD src0_sel:DWORD src1_sel:WORD_1
	v_fma_f16 v0, v0, 2.0, -v6
	v_fma_f16 v8, v32, 2.0, -v8
	v_fma_f16 v9, v22, v9, v10
	v_sub_f16_e32 v19, v0, v8
	v_fma_f16 v22, v0, 2.0, -v19
	v_sub_f16_e32 v0, v21, v9
	v_add_f16_e32 v23, v6, v4
	v_fma_f16 v4, v21, 2.0, -v0
	v_fma_f16 v5, v5, 2.0, -v7
	v_sub_f16_e32 v21, v4, v5
	v_add_f16_e32 v32, v0, v2
	v_fma_f16 v29, v6, 2.0, -v23
	v_fma_f16 v31, v4, 2.0, -v21
	;; [unrolled: 1-line block ×3, first 2 shown]
	s_waitcnt lgkmcnt(0)
	s_barrier
	ds_read_u16 v0, v47
	ds_read_u16 v2, v46 offset:136
	ds_read_u16 v5, v46 offset:272
	;; [unrolled: 1-line block ×9, first 2 shown]
	s_waitcnt lgkmcnt(0)
	s_barrier
	ds_write_b16 v34, v22
	ds_write_b16 v34, v29 offset:34
	ds_write_b16 v34, v19 offset:68
	;; [unrolled: 1-line block ×3, first 2 shown]
	ds_write_b16 v33, v31
	ds_write_b16 v33, v35 offset:34
	ds_write_b16 v33, v21 offset:68
	;; [unrolled: 1-line block ×3, first 2 shown]
	s_and_saveexec_b64 s[2:3], s[0:1]
	s_cbranch_execz .LBB0_24
; %bb.23:
	v_mul_f16_sdwa v19, v26, v3 dst_sel:DWORD dst_unused:UNUSED_PAD src0_sel:DWORD src1_sel:WORD_1
	v_fma_f16 v1, v1, v3, v19
	v_sub_f16_e32 v1, v30, v1
	v_fma_f16 v3, v30, 2.0, -v1
	v_fma_f16 v19, v20, 2.0, -v28
	s_movk_i32 s0, 0x88
	v_mov_b32_e32 v22, 1
	v_sub_f16_e32 v19, v3, v19
	v_mad_u32_u24 v21, v24, s0, 0
	v_lshlrev_b32_sdwa v22, v22, v25 dst_sel:DWORD dst_unused:UNUSED_PAD src0_sel:DWORD src1_sel:BYTE_0
	v_fma_f16 v3, v3, 2.0, -v19
	v_add_f16_e32 v20, v1, v27
	v_add3_u32 v17, v21, v22, v17
	v_fma_f16 v1, v1, 2.0, -v20
	ds_write_b16 v17, v3
	ds_write_b16 v17, v1 offset:34
	ds_write_b16 v17, v19 offset:68
	;; [unrolled: 1-line block ×3, first 2 shown]
.LBB0_24:
	s_or_b64 exec, exec, s[2:3]
	s_waitcnt lgkmcnt(0)
	s_barrier
	s_and_saveexec_b64 s[0:1], vcc
	s_cbranch_execz .LBB0_26
; %bb.25:
	v_mul_u32_u24_e32 v1, 9, v15
	v_lshlrev_b32_e32 v1, 2, v1
	global_load_dwordx4 v[19:22], v1, s[12:13] offset:204
	global_load_dwordx4 v[23:26], v1, s[12:13] offset:220
	global_load_dword v3, v1, s[12:13] offset:236
	v_mul_lo_u32 v1, s5, v13
	v_mul_lo_u32 v15, s4, v14
	v_mad_u64_u32 v[13:14], s[0:1], s4, v13, 0
	ds_read_u16 v17, v47
	ds_read_u16 v27, v46 offset:952
	ds_read_u16 v28, v46 offset:816
	;; [unrolled: 1-line block ×9, first 2 shown]
	v_add3_u32 v14, v14, v15, v1
	s_movk_i32 s0, 0x3b9c
	s_mov_b32 s3, 0xbb9c
	s_movk_i32 s1, 0x38b4
	s_mov_b32 s4, 0xb8b4
	s_movk_i32 s2, 0x34f2
	s_movk_i32 s5, 0x3a79
	s_waitcnt vmcnt(2)
	v_mul_f16_sdwa v1, v5, v20 dst_sel:DWORD dst_unused:UNUSED_PAD src0_sel:DWORD src1_sel:WORD_1
	v_mul_f16_sdwa v15, v9, v22 dst_sel:DWORD dst_unused:UNUSED_PAD src0_sel:DWORD src1_sel:WORD_1
	s_waitcnt vmcnt(1)
	v_mul_f16_sdwa v36, v18, v26 dst_sel:DWORD dst_unused:UNUSED_PAD src0_sel:DWORD src1_sel:WORD_1
	v_mul_f16_sdwa v37, v10, v24 dst_sel:DWORD dst_unused:UNUSED_PAD src0_sel:DWORD src1_sel:WORD_1
	s_waitcnt lgkmcnt(5)
	v_mul_f16_sdwa v38, v30, v22 dst_sel:DWORD dst_unused:UNUSED_PAD src0_sel:DWORD src1_sel:WORD_1
	v_mul_f16_sdwa v39, v28, v24 dst_sel:DWORD dst_unused:UNUSED_PAD src0_sel:DWORD src1_sel:WORD_1
	s_waitcnt lgkmcnt(1)
	v_mul_f16_sdwa v40, v34, v20 dst_sel:DWORD dst_unused:UNUSED_PAD src0_sel:DWORD src1_sel:WORD_1
	v_mul_f16_sdwa v41, v32, v26 dst_sel:DWORD dst_unused:UNUSED_PAD src0_sel:DWORD src1_sel:WORD_1
	;; [unrolled: 1-line block ×4, first 2 shown]
	s_waitcnt vmcnt(0)
	v_mul_f16_sdwa v44, v33, v3 dst_sel:DWORD dst_unused:UNUSED_PAD src0_sel:DWORD src1_sel:WORD_1
	v_mul_f16_sdwa v45, v27, v25 dst_sel:DWORD dst_unused:UNUSED_PAD src0_sel:DWORD src1_sel:WORD_1
	;; [unrolled: 1-line block ×6, first 2 shown]
	v_fma_f16 v1, v34, v20, v1
	v_fma_f16 v15, v30, v22, v15
	;; [unrolled: 1-line block ×4, first 2 shown]
	s_waitcnt lgkmcnt(0)
	v_mul_f16_sdwa v46, v35, v19 dst_sel:DWORD dst_unused:UNUSED_PAD src0_sel:DWORD src1_sel:WORD_1
	v_mul_f16_sdwa v51, v2, v19 dst_sel:DWORD dst_unused:UNUSED_PAD src0_sel:DWORD src1_sel:WORD_1
	v_fma_f16 v9, v9, v22, -v38
	v_fma_f16 v10, v10, v24, -v39
	v_fma_f16 v5, v5, v20, -v40
	v_fma_f16 v18, v18, v26, -v41
	v_fma_f16 v4, v4, v21, -v42
	v_fma_f16 v6, v6, v23, -v43
	v_fma_f16 v8, v8, v3, -v44
	v_fma_f16 v7, v7, v25, -v45
	v_fma_f16 v20, v21, v31, v47
	v_fma_f16 v3, v3, v33, v48
	;; [unrolled: 1-line block ×4, first 2 shown]
	v_sub_f16_e32 v23, v1, v15
	v_sub_f16_e32 v24, v30, v28
	v_add_f16_e32 v27, v15, v28
	v_fma_f16 v2, v2, v19, -v46
	v_fma_f16 v19, v19, v35, v51
	v_sub_f16_e32 v26, v5, v18
	v_sub_f16_e32 v29, v4, v6
	;; [unrolled: 1-line block ×5, first 2 shown]
	v_add_f16_e32 v23, v23, v24
	v_fma_f16 v24, v27, -0.5, v17
	v_sub_f16_e32 v42, v15, v1
	v_sub_f16_e32 v43, v28, v30
	;; [unrolled: 1-line block ×3, first 2 shown]
	v_add_f16_e32 v32, v6, v7
	v_add_f16_e32 v39, v21, v22
	;; [unrolled: 1-line block ×4, first 2 shown]
	v_fma_f16 v35, v26, s0, v24
	v_add_f16_e32 v42, v42, v43
	v_add_f16_e32 v43, v1, v30
	v_fma_f16 v24, v26, s3, v24
	v_sub_f16_e32 v38, v4, v8
	v_fma_f16 v29, v32, -0.5, v2
	v_fma_f16 v32, v39, -0.5, v19
	v_fma_f16 v35, v25, s1, v35
	v_fma_f16 v43, v43, -0.5, v17
	v_fma_f16 v24, v25, s4, v24
	v_add_f16_e32 v17, v1, v17
	v_sub_f16_e32 v37, v6, v7
	v_fma_f16 v39, v38, s0, v32
	v_fma_f16 v35, v23, s2, v35
	v_sub_f16_e32 v48, v21, v20
	v_sub_f16_e32 v49, v22, v3
	v_fma_f16 v23, v23, s2, v24
	v_fma_f16 v24, v38, s3, v32
	v_add_f16_e32 v17, v15, v17
	v_fma_f16 v39, v37, s1, v39
	v_add_f16_e32 v48, v48, v49
	v_add_f16_e32 v49, v20, v3
	v_fma_f16 v24, v37, s4, v24
	v_add_f16_e32 v17, v28, v17
	v_fma_f16 v39, v31, s2, v39
	v_fma_f16 v49, v49, -0.5, v19
	v_fma_f16 v24, v31, s2, v24
	v_add_f16_e32 v17, v30, v17
	v_add_f16_e32 v19, v20, v19
	v_sub_f16_e32 v1, v1, v30
	v_sub_f16_e32 v30, v9, v5
	v_sub_f16_e32 v31, v10, v18
	v_sub_f16_e32 v33, v20, v3
	v_sub_f16_e32 v34, v21, v22
	v_sub_f16_e32 v45, v6, v4
	v_sub_f16_e32 v46, v7, v8
	v_add_f16_e32 v19, v21, v19
	v_sub_f16_e32 v20, v5, v9
	v_sub_f16_e32 v21, v18, v10
	v_add_f16_e32 v30, v30, v31
	v_add_f16_e32 v31, v5, v18
	;; [unrolled: 1-line block ×6, first 2 shown]
	v_sub_f16_e32 v15, v15, v28
	v_fma_f16 v31, v31, -0.5, v0
	v_fma_f16 v44, v25, s3, v43
	v_fma_f16 v46, v46, -0.5, v2
	v_fma_f16 v43, v25, s0, v43
	v_fma_f16 v25, v33, s0, v29
	v_fma_f16 v21, v21, -0.5, v0
	v_fma_f16 v32, v15, s0, v31
	v_fma_f16 v31, v15, s3, v31
	v_add_f16_e32 v0, v0, v5
	v_add_f16_e32 v2, v4, v2
	v_fma_f16 v25, v34, s1, v25
	v_add_f16_e32 v19, v22, v19
	v_fma_f16 v22, v1, s3, v21
	v_fma_f16 v32, v1, s4, v32
	;; [unrolled: 1-line block ×4, first 2 shown]
	v_add_f16_e32 v0, v0, v9
	v_add_f16_e32 v2, v6, v2
	v_fma_f16 v25, v27, s2, v25
	v_fma_f16 v22, v15, s4, v22
	;; [unrolled: 1-line block ×3, first 2 shown]
	v_mul_f16_e32 v15, 0x38b4, v24
	v_add_f16_e32 v0, v0, v10
	v_add_f16_e32 v2, v7, v2
	v_fma_f16 v1, v20, s2, v1
	v_fma_f16 v15, v25, s5, v15
	v_add_f16_e32 v0, v18, v0
	v_add_f16_e32 v2, v8, v2
	v_fma_f16 v22, v20, s2, v22
	v_sub_f16_e32 v20, v1, v15
	v_sub_f16_e32 v4, v0, v2
	v_add_f16_e32 v15, v1, v15
	v_add_f16_e32 v2, v0, v2
	v_lshlrev_b64 v[0:1], 2, v[13:14]
	v_mov_b32_e32 v13, s11
	v_add_co_u32_e32 v14, vcc, s10, v0
	v_addc_co_u32_e32 v13, vcc, v13, v1, vcc
	v_lshlrev_b64 v[0:1], 2, v[11:12]
	v_fma_f16 v44, v26, s1, v44
	v_fma_f16 v43, v26, s4, v43
	v_add_f16_e32 v3, v3, v19
	v_fma_f16 v44, v42, s2, v44
	v_fma_f16 v47, v34, s0, v46
	;; [unrolled: 1-line block ×5, first 2 shown]
	v_sub_f16_e32 v19, v17, v3
	v_add_f16_e32 v3, v17, v3
	v_mov_b32_e32 v17, 0
	v_add_co_u32_e32 v11, vcc, v14, v0
	v_fma_f16 v47, v33, s4, v47
	v_fma_f16 v50, v37, s3, v49
	;; [unrolled: 1-line block ×4, first 2 shown]
	v_addc_co_u32_e32 v12, vcc, v13, v1, vcc
	v_lshlrev_b64 v[0:1], 2, v[16:17]
	v_fma_f16 v36, v33, s3, v29
	v_fma_f16 v47, v45, s2, v47
	;; [unrolled: 1-line block ×5, first 2 shown]
	v_mul_f16_e32 v26, 0xb8b4, v25
	v_fma_f16 v36, v34, s4, v36
	v_fma_f16 v50, v48, s2, v50
	v_mul_f16_e32 v46, 0xbb9c, v45
	v_fma_f16 v26, v24, s5, v26
	v_fma_f16 v32, v30, s2, v32
	;; [unrolled: 1-line block ×3, first 2 shown]
	v_mul_f16_e32 v31, 0x3b9c, v43
	v_add_co_u32_e32 v0, vcc, v11, v0
	v_fma_f16 v36, v27, s2, v36
	v_mul_f16_e32 v51, 0x34f2, v50
	v_fma_f16 v46, v43, s2, v46
	v_mul_f16_e32 v33, 0x34f2, v47
	v_fma_f16 v31, v45, s2, v31
	v_add_f16_e32 v8, v23, v26
	v_addc_co_u32_e32 v1, vcc, v12, v1, vcc
	v_pack_b32_f16 v2, v2, v3
	v_mul_f16_e32 v40, 0x3a79, v39
	v_fma_f16 v51, v47, s3, -v51
	v_mul_f16_e32 v28, 0x3a79, v36
	v_fma_f16 v33, v50, s0, -v33
	v_add_f16_e32 v7, v42, v46
	v_add_f16_e32 v18, v30, v31
	global_store_dword v[0:1], v2, off
	v_pack_b32_f16 v2, v15, v8
	v_fma_f16 v40, v36, s4, -v40
	v_fma_f16 v28, v39, s1, -v28
	v_add_f16_e32 v6, v44, v51
	v_add_f16_e32 v10, v32, v33
	global_store_dword v[0:1], v2, off offset:272
	v_pack_b32_f16 v2, v18, v7
	v_add_f16_e32 v5, v35, v40
	v_add_f16_e32 v9, v22, v28
	global_store_dword v[0:1], v2, off offset:544
	v_pack_b32_f16 v2, v10, v6
	global_store_dword v[0:1], v2, off offset:816
	v_pack_b32_f16 v2, v9, v5
	v_sub_f16_e32 v27, v23, v26
	global_store_dword v[0:1], v2, off offset:1088
	v_pack_b32_f16 v2, v4, v19
	v_sub_f16_e32 v48, v42, v46
	v_sub_f16_e32 v36, v30, v31
	global_store_dword v[0:1], v2, off offset:1360
	v_pack_b32_f16 v2, v20, v27
	v_sub_f16_e32 v52, v44, v51
	v_sub_f16_e32 v34, v32, v33
	global_store_dword v[0:1], v2, off offset:1632
	v_pack_b32_f16 v2, v36, v48
	v_sub_f16_e32 v41, v35, v40
	v_sub_f16_e32 v29, v22, v28
	global_store_dword v[0:1], v2, off offset:1904
	v_pack_b32_f16 v2, v34, v52
	global_store_dword v[0:1], v2, off offset:2176
	v_pack_b32_f16 v2, v29, v41
	global_store_dword v[0:1], v2, off offset:2448
.LBB0_26:
	s_endpgm
	.section	.rodata,"a",@progbits
	.p2align	6, 0x0
	.amdhsa_kernel fft_rtc_fwd_len680_factors_17_4_10_wgs_204_tpt_68_halfLds_half_op_CI_CI_unitstride_sbrr_dirReg
		.amdhsa_group_segment_fixed_size 0
		.amdhsa_private_segment_fixed_size 0
		.amdhsa_kernarg_size 104
		.amdhsa_user_sgpr_count 6
		.amdhsa_user_sgpr_private_segment_buffer 1
		.amdhsa_user_sgpr_dispatch_ptr 0
		.amdhsa_user_sgpr_queue_ptr 0
		.amdhsa_user_sgpr_kernarg_segment_ptr 1
		.amdhsa_user_sgpr_dispatch_id 0
		.amdhsa_user_sgpr_flat_scratch_init 0
		.amdhsa_user_sgpr_private_segment_size 0
		.amdhsa_uses_dynamic_stack 0
		.amdhsa_system_sgpr_private_segment_wavefront_offset 0
		.amdhsa_system_sgpr_workgroup_id_x 1
		.amdhsa_system_sgpr_workgroup_id_y 0
		.amdhsa_system_sgpr_workgroup_id_z 0
		.amdhsa_system_sgpr_workgroup_info 0
		.amdhsa_system_vgpr_workitem_id 0
		.amdhsa_next_free_vgpr 98
		.amdhsa_next_free_sgpr 28
		.amdhsa_reserve_vcc 1
		.amdhsa_reserve_flat_scratch 0
		.amdhsa_float_round_mode_32 0
		.amdhsa_float_round_mode_16_64 0
		.amdhsa_float_denorm_mode_32 3
		.amdhsa_float_denorm_mode_16_64 3
		.amdhsa_dx10_clamp 1
		.amdhsa_ieee_mode 1
		.amdhsa_fp16_overflow 0
		.amdhsa_exception_fp_ieee_invalid_op 0
		.amdhsa_exception_fp_denorm_src 0
		.amdhsa_exception_fp_ieee_div_zero 0
		.amdhsa_exception_fp_ieee_overflow 0
		.amdhsa_exception_fp_ieee_underflow 0
		.amdhsa_exception_fp_ieee_inexact 0
		.amdhsa_exception_int_div_zero 0
	.end_amdhsa_kernel
	.text
.Lfunc_end0:
	.size	fft_rtc_fwd_len680_factors_17_4_10_wgs_204_tpt_68_halfLds_half_op_CI_CI_unitstride_sbrr_dirReg, .Lfunc_end0-fft_rtc_fwd_len680_factors_17_4_10_wgs_204_tpt_68_halfLds_half_op_CI_CI_unitstride_sbrr_dirReg
                                        ; -- End function
	.section	.AMDGPU.csdata,"",@progbits
; Kernel info:
; codeLenInByte = 10568
; NumSgprs: 32
; NumVgprs: 98
; ScratchSize: 0
; MemoryBound: 0
; FloatMode: 240
; IeeeMode: 1
; LDSByteSize: 0 bytes/workgroup (compile time only)
; SGPRBlocks: 3
; VGPRBlocks: 24
; NumSGPRsForWavesPerEU: 32
; NumVGPRsForWavesPerEU: 98
; Occupancy: 2
; WaveLimiterHint : 1
; COMPUTE_PGM_RSRC2:SCRATCH_EN: 0
; COMPUTE_PGM_RSRC2:USER_SGPR: 6
; COMPUTE_PGM_RSRC2:TRAP_HANDLER: 0
; COMPUTE_PGM_RSRC2:TGID_X_EN: 1
; COMPUTE_PGM_RSRC2:TGID_Y_EN: 0
; COMPUTE_PGM_RSRC2:TGID_Z_EN: 0
; COMPUTE_PGM_RSRC2:TIDIG_COMP_CNT: 0
	.type	__hip_cuid_79ee4865b8a160d9,@object ; @__hip_cuid_79ee4865b8a160d9
	.section	.bss,"aw",@nobits
	.globl	__hip_cuid_79ee4865b8a160d9
__hip_cuid_79ee4865b8a160d9:
	.byte	0                               ; 0x0
	.size	__hip_cuid_79ee4865b8a160d9, 1

	.ident	"AMD clang version 19.0.0git (https://github.com/RadeonOpenCompute/llvm-project roc-6.4.0 25133 c7fe45cf4b819c5991fe208aaa96edf142730f1d)"
	.section	".note.GNU-stack","",@progbits
	.addrsig
	.addrsig_sym __hip_cuid_79ee4865b8a160d9
	.amdgpu_metadata
---
amdhsa.kernels:
  - .args:
      - .actual_access:  read_only
        .address_space:  global
        .offset:         0
        .size:           8
        .value_kind:     global_buffer
      - .offset:         8
        .size:           8
        .value_kind:     by_value
      - .actual_access:  read_only
        .address_space:  global
        .offset:         16
        .size:           8
        .value_kind:     global_buffer
      - .actual_access:  read_only
        .address_space:  global
        .offset:         24
        .size:           8
        .value_kind:     global_buffer
      - .actual_access:  read_only
        .address_space:  global
        .offset:         32
        .size:           8
        .value_kind:     global_buffer
      - .offset:         40
        .size:           8
        .value_kind:     by_value
      - .actual_access:  read_only
        .address_space:  global
        .offset:         48
        .size:           8
        .value_kind:     global_buffer
      - .actual_access:  read_only
        .address_space:  global
        .offset:         56
        .size:           8
        .value_kind:     global_buffer
      - .offset:         64
        .size:           4
        .value_kind:     by_value
      - .actual_access:  read_only
        .address_space:  global
        .offset:         72
        .size:           8
        .value_kind:     global_buffer
      - .actual_access:  read_only
        .address_space:  global
        .offset:         80
        .size:           8
        .value_kind:     global_buffer
      - .actual_access:  read_only
        .address_space:  global
        .offset:         88
        .size:           8
        .value_kind:     global_buffer
      - .actual_access:  write_only
        .address_space:  global
        .offset:         96
        .size:           8
        .value_kind:     global_buffer
    .group_segment_fixed_size: 0
    .kernarg_segment_align: 8
    .kernarg_segment_size: 104
    .language:       OpenCL C
    .language_version:
      - 2
      - 0
    .max_flat_workgroup_size: 204
    .name:           fft_rtc_fwd_len680_factors_17_4_10_wgs_204_tpt_68_halfLds_half_op_CI_CI_unitstride_sbrr_dirReg
    .private_segment_fixed_size: 0
    .sgpr_count:     32
    .sgpr_spill_count: 0
    .symbol:         fft_rtc_fwd_len680_factors_17_4_10_wgs_204_tpt_68_halfLds_half_op_CI_CI_unitstride_sbrr_dirReg.kd
    .uniform_work_group_size: 1
    .uses_dynamic_stack: false
    .vgpr_count:     98
    .vgpr_spill_count: 0
    .wavefront_size: 64
amdhsa.target:   amdgcn-amd-amdhsa--gfx906
amdhsa.version:
  - 1
  - 2
...

	.end_amdgpu_metadata
